;; amdgpu-corpus repo=ROCm/rocFFT kind=compiled arch=gfx1030 opt=O3
	.text
	.amdgcn_target "amdgcn-amd-amdhsa--gfx1030"
	.amdhsa_code_object_version 6
	.protected	bluestein_single_back_len1792_dim1_dp_op_CI_CI ; -- Begin function bluestein_single_back_len1792_dim1_dp_op_CI_CI
	.globl	bluestein_single_back_len1792_dim1_dp_op_CI_CI
	.p2align	8
	.type	bluestein_single_back_len1792_dim1_dp_op_CI_CI,@function
bluestein_single_back_len1792_dim1_dp_op_CI_CI: ; @bluestein_single_back_len1792_dim1_dp_op_CI_CI
; %bb.0:
	s_load_dwordx4 s[16:19], s[4:5], 0x28
	v_mul_u32_u24_e32 v1, 0x125, v0
	v_mov_b32_e32 v185, 0
	s_mov_b32 s0, exec_lo
	v_lshrrev_b32_e32 v1, 16, v1
	v_add_nc_u32_e32 v184, s6, v1
	s_waitcnt lgkmcnt(0)
	v_cmpx_gt_u64_e64 s[16:17], v[184:185]
	s_cbranch_execz .LBB0_10
; %bb.1:
	s_clause 0x1
	s_load_dwordx4 s[0:3], s[4:5], 0x18
	s_load_dwordx4 s[12:15], s[4:5], 0x0
	v_mul_lo_u16 v1, 0xe0, v1
                                        ; implicit-def: $vgpr160_vgpr161
                                        ; implicit-def: $vgpr164_vgpr165
                                        ; implicit-def: $vgpr168_vgpr169
                                        ; implicit-def: $vgpr172_vgpr173
                                        ; implicit-def: $vgpr176_vgpr177
                                        ; implicit-def: $vgpr180_vgpr181
	v_sub_nc_u16 v44, v0, v1
	v_and_b32_e32 v185, 0xffff, v44
	v_lshlrev_b32_e32 v186, 4, v185
	v_and_b32_e32 v102, 3, v185
	v_lshlrev_b32_e32 v188, 6, v185
	s_waitcnt lgkmcnt(0)
	s_load_dwordx4 s[8:11], s[0:1], 0x0
	v_and_b32_e32 v116, 15, v185
	v_add_co_u32 v24, s0, s12, v186
	v_add_co_ci_u32_e64 v25, null, s13, 0, s0
	global_load_dwordx4 v[0:3], v186, s[12:13]
	v_and_b32_e32 v140, 63, v185
	s_waitcnt lgkmcnt(0)
	v_mad_u64_u32 v[4:5], null, s10, v184, 0
	v_mad_u64_u32 v[6:7], null, s8, v185, 0
	s_mul_i32 s0, s9, 0x1c00
	s_mul_hi_u32 s1, s8, 0x1c00
	s_mul_i32 s6, s8, 0x1c00
	s_add_i32 s1, s1, s0
	s_mul_i32 s0, s9, 0xffffba00
	v_mad_u64_u32 v[8:9], null, s11, v184, v[5:6]
	v_add_co_u32 v9, vcc_lo, 0x1800, v24
	v_add_co_ci_u32_e32 v10, vcc_lo, 0, v25, vcc_lo
	s_sub_i32 s0, s0, s8
	v_mad_u64_u32 v[11:12], null, s9, v185, v[7:8]
	v_mov_b32_e32 v5, v8
	v_add_co_u32 v12, vcc_lo, 0x3800, v24
	v_add_co_ci_u32_e32 v13, vcc_lo, 0, v25, vcc_lo
	v_add_co_u32 v14, vcc_lo, 0x5000, v24
	v_mov_b32_e32 v7, v11
	v_lshlrev_b64 v[4:5], 4, v[4:5]
	v_add_co_ci_u32_e32 v15, vcc_lo, 0, v25, vcc_lo
	v_add_co_u32 v16, vcc_lo, 0x800, v24
	v_add_co_ci_u32_e32 v17, vcc_lo, 0, v25, vcc_lo
	v_lshlrev_b64 v[6:7], 4, v[6:7]
	v_add_co_u32 v4, vcc_lo, s18, v4
	v_add_co_ci_u32_e32 v5, vcc_lo, s19, v5, vcc_lo
	v_add_co_u32 v18, vcc_lo, v4, v6
	v_add_co_ci_u32_e32 v19, vcc_lo, v5, v7, vcc_lo
	;; [unrolled: 2-line block ×8, first 2 shown]
	v_mad_u64_u32 v[49:50], null, 0xffffba00, s8, v[45:46]
	s_clause 0x4
	global_load_dwordx4 v[28:31], v[9:10], off offset:1024
	global_load_dwordx4 v[24:27], v[12:13], off
	global_load_dwordx4 v[12:15], v[14:15], off offset:1024
	global_load_dwordx4 v[8:11], v[16:17], off offset:1536
	;; [unrolled: 1-line block ×3, first 2 shown]
	s_clause 0x3
	global_load_dwordx4 v[32:35], v[18:19], off
	global_load_dwordx4 v[36:39], v[20:21], off
	;; [unrolled: 1-line block ×4, first 2 shown]
	v_add_nc_u32_e32 v50, s0, v50
	v_add_co_u32 v16, vcc_lo, v49, s6
	v_add_co_ci_u32_e32 v17, vcc_lo, s1, v50, vcc_lo
	v_add_co_u32 v20, vcc_lo, v16, s6
	global_load_dwordx4 v[49:52], v[49:50], off
	v_add_co_ci_u32_e32 v21, vcc_lo, s1, v17, vcc_lo
	v_add_co_u32 v63, vcc_lo, v20, s6
	v_add_co_ci_u32_e32 v64, vcc_lo, s1, v21, vcc_lo
	global_load_dwordx4 v[53:56], v[16:17], off
	global_load_dwordx4 v[16:19], v[57:58], off offset:1536
	global_load_dwordx4 v[57:60], v[20:21], off
	global_load_dwordx4 v[20:23], v[61:62], off offset:512
	global_load_dwordx4 v[61:64], v[63:64], off
	s_load_dwordx4 s[8:11], s[2:3], 0x0
	s_load_dwordx2 s[2:3], s[4:5], 0x38
	v_cmp_gt_u16_e32 vcc_lo, 32, v44
	s_waitcnt vmcnt(9)
	v_mul_f64 v[65:66], v[34:35], v[2:3]
	v_mul_f64 v[67:68], v[32:33], v[2:3]
	s_waitcnt vmcnt(8)
	v_mul_f64 v[69:70], v[38:39], v[30:31]
	v_mul_f64 v[71:72], v[36:37], v[30:31]
	;; [unrolled: 3-line block ×8, first 2 shown]
	v_fma_f64 v[32:33], v[32:33], v[0:1], v[65:66]
	v_fma_f64 v[34:35], v[34:35], v[0:1], -v[67:68]
	v_fma_f64 v[36:37], v[36:37], v[28:29], v[69:70]
	v_fma_f64 v[38:39], v[38:39], v[28:29], -v[71:72]
	;; [unrolled: 2-line block ×8, first 2 shown]
	ds_write_b128 v186, v[32:35]
	ds_write_b128 v186, v[36:39] offset:7168
	ds_write_b128 v186, v[40:43] offset:14336
	;; [unrolled: 1-line block ×7, first 2 shown]
	s_waitcnt lgkmcnt(0)
	s_barrier
	buffer_gl0_inv
	ds_read_b128 v[32:35], v186 offset:14336
	ds_read_b128 v[36:39], v186
	ds_read_b128 v[40:43], v186 offset:7168
	ds_read_b128 v[45:48], v186 offset:21504
	;; [unrolled: 1-line block ×6, first 2 shown]
	s_waitcnt lgkmcnt(0)
	s_barrier
	buffer_gl0_inv
	v_add_f64 v[65:66], v[36:37], -v[32:33]
	v_add_f64 v[67:68], v[38:39], -v[34:35]
	;; [unrolled: 1-line block ×8, first 2 shown]
	v_fma_f64 v[61:62], v[36:37], 2.0, -v[65:66]
	v_fma_f64 v[63:64], v[38:39], 2.0, -v[67:68]
	;; [unrolled: 1-line block ×8, first 2 shown]
	v_add_f64 v[32:33], v[65:66], -v[32:33]
	v_add_f64 v[34:35], v[67:68], v[34:35]
	v_add_f64 v[36:37], v[69:70], -v[45:46]
	v_add_co_u32 v45, null, 0xe0, v185
	v_lshlrev_b32_e32 v187, 6, v45
	v_and_b32_e32 v141, 63, v45
	v_add_f64 v[40:41], v[61:62], -v[38:39]
	v_add_f64 v[42:43], v[63:64], -v[42:43]
	v_add_f64 v[38:39], v[71:72], v[53:54]
	v_add_f64 v[46:47], v[73:74], -v[47:48]
	v_add_f64 v[48:49], v[75:76], -v[49:50]
	v_fma_f64 v[50:51], v[65:66], 2.0, -v[32:33]
	v_fma_f64 v[52:53], v[67:68], 2.0, -v[34:35]
	v_fma_f64 v[54:55], v[69:70], 2.0, -v[36:37]
	v_mad_u64_u32 v[66:67], null, v102, 48, s[14:15]
	v_fma_f64 v[58:59], v[61:62], 2.0, -v[40:41]
	v_fma_f64 v[60:61], v[63:64], 2.0, -v[42:43]
	;; [unrolled: 1-line block ×5, first 2 shown]
	ds_write_b128 v188, v[32:35] offset:48
	ds_write_b128 v188, v[50:53] offset:16
	ds_write_b128 v188, v[40:43] offset:32
	ds_write_b128 v188, v[58:61]
	ds_write_b128 v187, v[62:65]
	ds_write_b128 v187, v[54:57] offset:16
	ds_write_b128 v187, v[46:49] offset:32
	;; [unrolled: 1-line block ×3, first 2 shown]
	s_waitcnt lgkmcnt(0)
	s_barrier
	buffer_gl0_inv
	s_clause 0x2
	global_load_dwordx4 v[40:43], v[66:67], off
	global_load_dwordx4 v[36:39], v[66:67], off offset:16
	global_load_dwordx4 v[32:35], v[66:67], off offset:32
	ds_read_b128 v[46:49], v186 offset:7168
	ds_read_b128 v[50:53], v186 offset:14336
	;; [unrolled: 1-line block ×6, first 2 shown]
	ds_read_b128 v[70:73], v186
	ds_read_b128 v[74:77], v186 offset:3584
	s_waitcnt vmcnt(0) lgkmcnt(0)
	s_barrier
	buffer_gl0_inv
	v_mul_f64 v[78:79], v[48:49], v[42:43]
	v_mul_f64 v[80:81], v[46:47], v[42:43]
	;; [unrolled: 1-line block ×12, first 2 shown]
	v_fma_f64 v[46:47], v[46:47], v[40:41], -v[78:79]
	v_fma_f64 v[48:49], v[48:49], v[40:41], v[80:81]
	v_fma_f64 v[50:51], v[50:51], v[36:37], -v[82:83]
	v_fma_f64 v[52:53], v[52:53], v[36:37], v[84:85]
	v_fma_f64 v[54:55], v[54:55], v[32:33], -v[86:87]
	v_fma_f64 v[56:57], v[56:57], v[32:33], v[88:89]
	v_fma_f64 v[58:59], v[58:59], v[40:41], -v[90:91]
	v_fma_f64 v[60:61], v[60:61], v[40:41], v[92:93]
	v_fma_f64 v[62:63], v[62:63], v[36:37], -v[94:95]
	v_fma_f64 v[64:65], v[64:65], v[36:37], v[96:97]
	v_fma_f64 v[66:67], v[66:67], v[32:33], -v[98:99]
	v_fma_f64 v[68:69], v[68:69], v[32:33], v[100:101]
	v_add_f64 v[78:79], v[70:71], -v[50:51]
	v_add_f64 v[80:81], v[72:73], -v[52:53]
	;; [unrolled: 1-line block ×8, first 2 shown]
	v_fma_f64 v[70:71], v[70:71], 2.0, -v[78:79]
	v_fma_f64 v[86:87], v[72:73], 2.0, -v[80:81]
	;; [unrolled: 1-line block ×4, first 2 shown]
	v_add_f64 v[48:49], v[78:79], -v[52:53]
	v_add_f64 v[50:51], v[80:81], v[50:51]
	v_fma_f64 v[88:89], v[74:75], 2.0, -v[82:83]
	v_fma_f64 v[90:91], v[76:77], 2.0, -v[84:85]
	;; [unrolled: 1-line block ×4, first 2 shown]
	v_add_f64 v[52:53], v[82:83], -v[56:57]
	v_add_f64 v[54:55], v[84:85], v[54:55]
	v_add_f64 v[56:57], v[70:71], -v[46:47]
	v_add_f64 v[58:59], v[86:87], -v[62:63]
	v_lshlrev_b32_e32 v47, 2, v185
	v_lshlrev_b32_e32 v46, 2, v45
	v_add_f64 v[60:61], v[88:89], -v[64:65]
	v_add_f64 v[62:63], v[90:91], -v[66:67]
	v_fma_f64 v[64:65], v[78:79], 2.0, -v[48:49]
	v_fma_f64 v[66:67], v[80:81], 2.0, -v[50:51]
	;; [unrolled: 1-line block ×3, first 2 shown]
	v_and_or_b32 v82, 0x3f0, v47, v102
	v_mad_u64_u32 v[80:81], null, v116, 48, s[14:15]
	v_and_or_b32 v83, 0x7f0, v46, v102
	v_lshlrev_b32_e32 v190, 4, v82
	v_lshlrev_b32_e32 v189, 4, v83
	v_fma_f64 v[72:73], v[70:71], 2.0, -v[56:57]
	v_fma_f64 v[74:75], v[86:87], 2.0, -v[58:59]
	;; [unrolled: 1-line block ×5, first 2 shown]
	ds_write_b128 v190, v[48:51] offset:192
	ds_write_b128 v190, v[64:67] offset:64
	;; [unrolled: 1-line block ×3, first 2 shown]
	ds_write_b128 v190, v[72:75]
	ds_write_b128 v189, v[76:79]
	ds_write_b128 v189, v[68:71] offset:64
	ds_write_b128 v189, v[60:63] offset:128
	;; [unrolled: 1-line block ×3, first 2 shown]
	s_waitcnt lgkmcnt(0)
	s_barrier
	buffer_gl0_inv
	s_clause 0x2
	global_load_dwordx4 v[56:59], v[80:81], off offset:192
	global_load_dwordx4 v[52:55], v[80:81], off offset:208
	;; [unrolled: 1-line block ×3, first 2 shown]
	ds_read_b128 v[60:63], v186 offset:7168
	ds_read_b128 v[64:67], v186 offset:14336
	;; [unrolled: 1-line block ×6, first 2 shown]
	ds_read_b128 v[84:87], v186
	ds_read_b128 v[88:91], v186 offset:3584
	s_waitcnt vmcnt(0) lgkmcnt(0)
	s_barrier
	buffer_gl0_inv
	v_mul_f64 v[92:93], v[62:63], v[58:59]
	v_mul_f64 v[94:95], v[60:61], v[58:59]
	;; [unrolled: 1-line block ×12, first 2 shown]
	v_fma_f64 v[60:61], v[60:61], v[56:57], -v[92:93]
	v_fma_f64 v[62:63], v[62:63], v[56:57], v[94:95]
	v_fma_f64 v[64:65], v[64:65], v[52:53], -v[96:97]
	v_fma_f64 v[66:67], v[66:67], v[52:53], v[98:99]
	;; [unrolled: 2-line block ×6, first 2 shown]
	v_add_f64 v[92:93], v[84:85], -v[64:65]
	v_add_f64 v[94:95], v[86:87], -v[66:67]
	;; [unrolled: 1-line block ×8, first 2 shown]
	v_fma_f64 v[82:83], v[84:85], 2.0, -v[92:93]
	v_fma_f64 v[86:87], v[86:87], 2.0, -v[94:95]
	;; [unrolled: 1-line block ×4, first 2 shown]
	v_add_f64 v[60:61], v[92:93], -v[66:67]
	v_add_f64 v[62:63], v[94:95], v[64:65]
	v_fma_f64 v[88:89], v[88:89], 2.0, -v[96:97]
	v_fma_f64 v[90:91], v[90:91], 2.0, -v[98:99]
	;; [unrolled: 1-line block ×4, first 2 shown]
	v_add_f64 v[64:65], v[96:97], -v[68:69]
	v_add_f64 v[66:67], v[98:99], v[76:77]
	v_add_f64 v[68:69], v[82:83], -v[70:71]
	v_add_f64 v[70:71], v[86:87], -v[78:79]
	v_fma_f64 v[76:77], v[92:93], 2.0, -v[60:61]
	v_fma_f64 v[78:79], v[94:95], 2.0, -v[62:63]
	v_and_or_b32 v94, 0x3c0, v47, v116
	v_mad_u64_u32 v[92:93], null, v140, 48, s[14:15]
	v_add_f64 v[72:73], v[88:89], -v[72:73]
	v_add_f64 v[74:75], v[90:91], -v[74:75]
	v_fma_f64 v[80:81], v[96:97], 2.0, -v[64:65]
	v_and_or_b32 v96, 0x7c0, v46, v116
	v_lshlrev_b32_e32 v194, 4, v94
	v_mad_u64_u32 v[94:95], null, v141, 48, s[14:15]
	v_and_or_b32 v47, 0x300, v47, v140
	v_lshlrev_b32_e32 v193, 4, v96
	v_and_or_b32 v46, 0x700, v46, v141
	v_lshlrev_b32_e32 v192, 4, v47
	v_lshlrev_b32_e32 v191, 4, v46
	v_fma_f64 v[84:85], v[82:83], 2.0, -v[68:69]
	v_fma_f64 v[86:87], v[86:87], 2.0, -v[70:71]
	;; [unrolled: 1-line block ×5, first 2 shown]
	ds_write_b128 v194, v[60:63] offset:768
	ds_write_b128 v194, v[76:79] offset:256
	;; [unrolled: 1-line block ×3, first 2 shown]
	ds_write_b128 v194, v[84:87]
	ds_write_b128 v193, v[88:91]
	ds_write_b128 v193, v[80:83] offset:256
	ds_write_b128 v193, v[72:75] offset:512
	ds_write_b128 v193, v[64:67] offset:768
	s_waitcnt lgkmcnt(0)
	s_barrier
	buffer_gl0_inv
	s_clause 0x5
	global_load_dwordx4 v[88:91], v[92:93], off offset:960
	global_load_dwordx4 v[84:87], v[92:93], off offset:976
	;; [unrolled: 1-line block ×6, first 2 shown]
	ds_read_b128 v[60:63], v186 offset:7168
	ds_read_b128 v[64:67], v186 offset:14336
	;; [unrolled: 1-line block ×6, first 2 shown]
	ds_read_b128 v[108:111], v186
	ds_read_b128 v[112:115], v186 offset:3584
	s_waitcnt vmcnt(0) lgkmcnt(0)
	s_barrier
	buffer_gl0_inv
	v_mul_f64 v[116:117], v[62:63], v[90:91]
	v_mul_f64 v[118:119], v[60:61], v[90:91]
	;; [unrolled: 1-line block ×12, first 2 shown]
	v_fma_f64 v[60:61], v[60:61], v[88:89], -v[116:117]
	v_fma_f64 v[62:63], v[62:63], v[88:89], v[118:119]
	v_fma_f64 v[64:65], v[64:65], v[84:85], -v[120:121]
	v_fma_f64 v[66:67], v[66:67], v[84:85], v[122:123]
	v_fma_f64 v[68:69], v[68:69], v[80:81], -v[124:125]
	v_fma_f64 v[70:71], v[70:71], v[80:81], v[126:127]
	v_fma_f64 v[72:73], v[72:73], v[100:101], -v[128:129]
	v_fma_f64 v[74:75], v[74:75], v[100:101], v[130:131]
	v_fma_f64 v[76:77], v[76:77], v[96:97], -v[132:133]
	v_fma_f64 v[78:79], v[78:79], v[96:97], v[134:135]
	v_fma_f64 v[104:105], v[104:105], v[92:93], -v[136:137]
	v_fma_f64 v[106:107], v[106:107], v[92:93], v[138:139]
	v_add_f64 v[116:117], v[108:109], -v[64:65]
	v_add_f64 v[118:119], v[110:111], -v[66:67]
	;; [unrolled: 1-line block ×8, first 2 shown]
	v_fma_f64 v[106:107], v[108:109], 2.0, -v[116:117]
	v_fma_f64 v[108:109], v[110:111], 2.0, -v[118:119]
	;; [unrolled: 1-line block ×4, first 2 shown]
	v_add_f64 v[60:61], v[116:117], -v[66:67]
	v_add_f64 v[62:63], v[118:119], v[64:65]
	v_fma_f64 v[112:113], v[112:113], 2.0, -v[76:77]
	v_fma_f64 v[114:115], v[114:115], 2.0, -v[78:79]
	;; [unrolled: 1-line block ×4, first 2 shown]
	v_add_f64 v[128:129], v[76:77], -v[68:69]
	v_add_f64 v[130:131], v[78:79], v[104:105]
	v_add_f64 v[64:65], v[106:107], -v[70:71]
	v_add_f64 v[66:67], v[108:109], -v[110:111]
	;; [unrolled: 1-line block ×4, first 2 shown]
	v_fma_f64 v[72:73], v[116:117], 2.0, -v[60:61]
	v_fma_f64 v[74:75], v[118:119], 2.0, -v[62:63]
	;; [unrolled: 1-line block ×8, first 2 shown]
	ds_write_b128 v192, v[60:63] offset:3072
	ds_write_b128 v192, v[72:75] offset:1024
	;; [unrolled: 1-line block ×3, first 2 shown]
	ds_write_b128 v192, v[104:107]
	ds_write_b128 v191, v[108:111]
	ds_write_b128 v191, v[76:79] offset:1024
	ds_write_b128 v191, v[68:71] offset:2048
	;; [unrolled: 1-line block ×3, first 2 shown]
	s_waitcnt lgkmcnt(0)
	s_barrier
	buffer_gl0_inv
	ds_read_b128 v[132:135], v186
	ds_read_b128 v[152:155], v186 offset:4096
	ds_read_b128 v[148:151], v186 offset:8192
	;; [unrolled: 1-line block ×6, first 2 shown]
	s_and_saveexec_b32 s0, vcc_lo
	s_cbranch_execz .LBB0_3
; %bb.2:
	ds_read_b128 v[128:131], v186 offset:3584
	ds_read_b128 v[160:163], v186 offset:7680
	;; [unrolled: 1-line block ×7, first 2 shown]
.LBB0_3:
	s_or_b32 exec_lo, exec_lo, s0
	v_mad_u64_u32 v[46:47], null, 0x60, v185, s[14:15]
	v_and_b32_e32 v62, 0xff, v45
	s_mov_b32 s22, 0xe976ee23
	s_mov_b32 s4, 0x429ad128
	;; [unrolled: 1-line block ×4, first 2 shown]
	v_mad_u64_u32 v[62:63], null, 0x60, v62, s[14:15]
	v_add_co_u32 v44, s0, 0xfc0, v46
	v_add_co_u32 v60, s1, 0x800, v46
	v_add_co_ci_u32_e64 v45, s0, 0, v47, s0
	v_add_co_ci_u32_e64 v61, s0, 0, v47, s1
	v_add_co_u32 v46, s0, 0x1000, v46
	v_add_co_ci_u32_e64 v47, s0, 0, v47, s0
	s_clause 0x5
	global_load_dwordx4 v[116:119], v[60:61], off offset:1984
	global_load_dwordx4 v[104:107], v[44:45], off offset:48
	;; [unrolled: 1-line block ×4, first 2 shown]
	global_load_dwordx4 v[112:115], v[46:47], off
	global_load_dwordx4 v[124:127], v[46:47], off offset:16
	v_add_co_u32 v44, s0, 0x800, v62
	v_add_co_ci_u32_e64 v45, s0, 0, v63, s0
	v_add_co_u32 v68, s0, 0xfc0, v62
	v_add_co_ci_u32_e64 v69, s0, 0, v63, s0
	;; [unrolled: 2-line block ×3, first 2 shown]
	s_clause 0x5
	global_load_dwordx4 v[44:47], v[44:45], off offset:1984
	global_load_dwordx4 v[64:67], v[68:69], off offset:16
	;; [unrolled: 1-line block ×5, first 2 shown]
	global_load_dwordx4 v[72:75], v[72:73], off
	s_mov_b32 s0, 0x36b3c0b5
	s_mov_b32 s1, 0x3fac98ee
	;; [unrolled: 1-line block ×16, first 2 shown]
	s_waitcnt vmcnt(11) lgkmcnt(5)
	v_mul_f64 v[195:196], v[154:155], v[118:119]
	v_mul_f64 v[197:198], v[152:153], v[118:119]
	s_waitcnt vmcnt(9) lgkmcnt(3)
	v_mul_f64 v[203:204], v[142:143], v[110:111]
	s_waitcnt vmcnt(8)
	v_mul_f64 v[199:200], v[150:151], v[122:123]
	v_mul_f64 v[201:202], v[148:149], v[122:123]
	;; [unrolled: 1-line block ×3, first 2 shown]
	s_waitcnt vmcnt(6) lgkmcnt(0)
	v_mul_f64 v[207:208], v[158:159], v[126:127]
	v_mul_f64 v[209:210], v[156:157], v[126:127]
	;; [unrolled: 1-line block ×6, first 2 shown]
	s_waitcnt vmcnt(4)
	v_mul_f64 v[223:224], v[166:167], v[66:67]
	v_mul_f64 v[225:226], v[164:165], v[66:67]
	s_waitcnt vmcnt(2)
	v_mul_f64 v[231:232], v[182:183], v[78:79]
	v_mul_f64 v[219:220], v[162:163], v[46:47]
	;; [unrolled: 1-line block ×4, first 2 shown]
	s_waitcnt vmcnt(0)
	v_mul_f64 v[239:240], v[178:179], v[74:75]
	v_mul_f64 v[241:242], v[176:177], v[74:75]
	v_mul_f64 v[227:228], v[170:171], v[62:63]
	v_mul_f64 v[229:230], v[168:169], v[62:63]
	v_mul_f64 v[235:236], v[174:175], v[70:71]
	v_mul_f64 v[237:238], v[172:173], v[70:71]
	v_fma_f64 v[152:153], v[152:153], v[116:117], -v[195:196]
	v_fma_f64 v[154:155], v[154:155], v[116:117], v[197:198]
	v_fma_f64 v[148:149], v[148:149], v[120:121], -v[199:200]
	v_fma_f64 v[150:151], v[150:151], v[120:121], v[201:202]
	;; [unrolled: 2-line block ×6, first 2 shown]
	v_fma_f64 v[180:181], v[180:181], v[76:77], -v[231:232]
	v_fma_f64 v[160:161], v[160:161], v[44:45], -v[219:220]
	v_fma_f64 v[162:163], v[162:163], v[44:45], v[221:222]
	v_fma_f64 v[182:183], v[182:183], v[76:77], v[233:234]
	v_fma_f64 v[164:165], v[164:165], v[64:65], -v[223:224]
	v_fma_f64 v[166:167], v[166:167], v[64:65], v[225:226]
	v_fma_f64 v[176:177], v[176:177], v[72:73], -v[239:240]
	;; [unrolled: 2-line block ×4, first 2 shown]
	v_fma_f64 v[174:175], v[174:175], v[68:69], v[237:238]
	v_add_f64 v[195:196], v[152:153], v[156:157]
	v_add_f64 v[197:198], v[154:155], v[158:159]
	;; [unrolled: 1-line block ×4, first 2 shown]
	v_add_f64 v[152:153], v[152:153], -v[156:157]
	v_add_f64 v[154:155], v[154:155], -v[158:159]
	v_add_f64 v[156:157], v[140:141], v[136:137]
	v_add_f64 v[158:159], v[142:143], v[138:139]
	v_add_f64 v[144:145], v[148:149], -v[144:145]
	v_add_f64 v[146:147], v[150:151], -v[146:147]
	;; [unrolled: 1-line block ×4, first 2 shown]
	v_add_f64 v[140:141], v[160:161], v[180:181]
	v_add_f64 v[142:143], v[162:163], v[182:183]
	v_add_f64 v[148:149], v[160:161], -v[180:181]
	v_add_f64 v[150:151], v[162:163], -v[182:183]
	v_add_f64 v[160:161], v[164:165], v[176:177]
	v_add_f64 v[162:163], v[166:167], v[178:179]
	v_add_f64 v[164:165], v[164:165], -v[176:177]
	v_add_f64 v[166:167], v[166:167], -v[178:179]
	;; [unrolled: 4-line block ×4, first 2 shown]
	v_add_f64 v[199:200], v[156:157], -v[199:200]
	v_add_f64 v[201:202], v[158:159], -v[201:202]
	;; [unrolled: 1-line block ×4, first 2 shown]
	v_add_f64 v[203:204], v[136:137], v[144:145]
	v_add_f64 v[205:206], v[138:139], v[146:147]
	v_add_f64 v[207:208], v[136:137], -v[144:145]
	v_add_f64 v[209:210], v[138:139], -v[146:147]
	;; [unrolled: 1-line block ×4, first 2 shown]
	v_add_f64 v[211:212], v[160:161], v[140:141]
	v_add_f64 v[213:214], v[162:163], v[142:143]
	v_add_f64 v[144:145], v[144:145], -v[152:153]
	v_add_f64 v[146:147], v[146:147], -v[154:155]
	;; [unrolled: 1-line block ×8, first 2 shown]
	v_add_f64 v[219:220], v[168:169], v[164:165]
	v_add_f64 v[221:222], v[170:171], v[166:167]
	v_add_f64 v[223:224], v[168:169], -v[164:165]
	v_add_f64 v[225:226], v[170:171], -v[166:167]
	v_add_f64 v[172:173], v[156:157], v[172:173]
	v_add_f64 v[174:175], v[158:159], v[174:175]
	v_add_f64 v[164:165], v[164:165], -v[148:149]
	v_add_f64 v[166:167], v[166:167], -v[150:151]
	v_add_f64 v[203:204], v[203:204], v[152:153]
	v_add_f64 v[205:206], v[205:206], v[154:155]
	v_mul_f64 v[152:153], v[199:200], s[0:1]
	v_mul_f64 v[154:155], v[201:202], s[0:1]
	v_add_f64 v[176:177], v[176:177], v[211:212]
	v_add_f64 v[178:179], v[178:179], v[213:214]
	v_add_f64 v[168:169], v[148:149], -v[168:169]
	v_add_f64 v[170:171], v[150:151], -v[170:171]
	v_mul_f64 v[195:196], v[195:196], s[14:15]
	v_mul_f64 v[197:198], v[197:198], s[14:15]
	;; [unrolled: 1-line block ×6, first 2 shown]
	v_add_f64 v[148:149], v[219:220], v[148:149]
	v_add_f64 v[150:151], v[221:222], v[150:151]
	v_mul_f64 v[140:141], v[140:141], s[14:15]
	v_mul_f64 v[142:143], v[142:143], s[14:15]
	v_add_f64 v[156:157], v[132:133], v[172:173]
	v_add_f64 v[158:159], v[134:135], v[174:175]
	v_mul_f64 v[132:133], v[160:161], s[0:1]
	v_mul_f64 v[134:135], v[162:163], s[0:1]
	v_mul_f64 v[219:220], v[223:224], s[22:23]
	v_mul_f64 v[221:222], v[225:226], s[22:23]
	v_mul_f64 v[223:224], v[164:165], s[4:5]
	v_mul_f64 v[225:226], v[166:167], s[4:5]
	v_fma_f64 v[227:228], v[180:181], s[20:21], -v[152:153]
	v_fma_f64 v[229:230], v[182:183], s[20:21], -v[154:155]
	v_add_f64 v[152:153], v[128:129], v[176:177]
	v_add_f64 v[154:155], v[130:131], v[178:179]
	v_fma_f64 v[199:200], v[199:200], s[0:1], v[195:196]
	v_fma_f64 v[201:202], v[201:202], s[0:1], v[197:198]
	v_fma_f64 v[128:129], v[180:181], s[16:17], -v[195:196]
	v_fma_f64 v[130:131], v[182:183], s[16:17], -v[197:198]
	v_fma_f64 v[180:181], v[136:137], s[24:25], v[207:208]
	v_fma_f64 v[182:183], v[138:139], s[24:25], v[209:210]
	v_fma_f64 v[144:145], v[144:145], s[4:5], -v[207:208]
	v_fma_f64 v[146:147], v[146:147], s[4:5], -v[209:210]
	v_fma_f64 v[136:137], v[136:137], s[26:27], -v[211:212]
	v_fma_f64 v[138:139], v[138:139], s[26:27], -v[213:214]
	v_fma_f64 v[172:173], v[172:173], s[6:7], v[156:157]
	v_fma_f64 v[174:175], v[174:175], s[6:7], v[158:159]
	;; [unrolled: 1-line block ×4, first 2 shown]
	v_fma_f64 v[132:133], v[215:216], s[20:21], -v[132:133]
	v_fma_f64 v[134:135], v[217:218], s[20:21], -v[134:135]
	v_fma_f64 v[195:196], v[168:169], s[24:25], v[219:220]
	v_fma_f64 v[197:198], v[170:171], s[24:25], v[221:222]
	v_fma_f64 v[164:165], v[164:165], s[4:5], -v[219:220]
	v_fma_f64 v[166:167], v[166:167], s[4:5], -v[221:222]
	;; [unrolled: 1-line block ×4, first 2 shown]
	v_fma_f64 v[176:177], v[176:177], s[6:7], v[152:153]
	v_fma_f64 v[178:179], v[178:179], s[6:7], v[154:155]
	v_fma_f64 v[140:141], v[215:216], s[16:17], -v[140:141]
	v_fma_f64 v[142:143], v[217:218], s[16:17], -v[142:143]
	v_fma_f64 v[207:208], v[203:204], s[18:19], v[180:181]
	v_fma_f64 v[180:181], v[205:206], s[18:19], v[182:183]
	;; [unrolled: 1-line block ×6, first 2 shown]
	v_add_f64 v[182:183], v[199:200], v[172:173]
	v_add_f64 v[199:200], v[201:202], v[174:175]
	;; [unrolled: 1-line block ×6, first 2 shown]
	v_fma_f64 v[195:196], v[148:149], s[18:19], v[195:196]
	v_fma_f64 v[197:198], v[150:151], s[18:19], v[197:198]
	;; [unrolled: 1-line block ×6, first 2 shown]
	v_add_f64 v[205:206], v[160:161], v[176:177]
	v_add_f64 v[209:210], v[162:163], v[178:179]
	;; [unrolled: 1-line block ×7, first 2 shown]
	v_add_f64 v[162:163], v[199:200], -v[207:208]
	v_add_f64 v[164:165], v[138:139], v[128:129]
	v_add_f64 v[166:167], v[130:131], -v[136:137]
	v_add_f64 v[168:169], v[172:173], -v[146:147]
	v_add_f64 v[170:171], v[144:145], v[174:175]
	v_add_f64 v[172:173], v[146:147], v[172:173]
	v_add_f64 v[174:175], v[174:175], -v[144:145]
	v_add_f64 v[176:177], v[128:129], -v[138:139]
	v_add_f64 v[178:179], v[136:137], v[130:131]
	v_add_f64 v[180:181], v[182:183], -v[180:181]
	v_add_f64 v[182:183], v[207:208], v[199:200]
	v_add_f64 v[128:129], v[197:198], v[205:206]
	v_add_f64 v[130:131], v[209:210], -v[195:196]
	v_add_f64 v[132:133], v[150:151], v[211:212]
	v_add_f64 v[134:135], v[213:214], -v[148:149]
	v_add_f64 v[136:137], v[140:141], -v[203:204]
	v_add_f64 v[138:139], v[201:202], v[142:143]
	v_add_f64 v[140:141], v[203:204], v[140:141]
	v_add_f64 v[142:143], v[142:143], -v[201:202]
	v_add_f64 v[144:145], v[211:212], -v[150:151]
	v_add_f64 v[146:147], v[148:149], v[213:214]
	v_add_f64 v[148:149], v[205:206], -v[197:198]
	v_add_f64 v[150:151], v[195:196], v[209:210]
	ds_write_b128 v186, v[156:159]
	ds_write_b128 v186, v[160:163] offset:4096
	ds_write_b128 v186, v[164:167] offset:8192
	ds_write_b128 v186, v[168:171] offset:12288
	ds_write_b128 v186, v[172:175] offset:16384
	ds_write_b128 v186, v[176:179] offset:20480
	ds_write_b128 v186, v[180:183] offset:24576
	s_and_saveexec_b32 s0, vcc_lo
	s_cbranch_execz .LBB0_5
; %bb.4:
	ds_write_b128 v186, v[152:155] offset:3584
	ds_write_b128 v186, v[128:131] offset:7680
	;; [unrolled: 1-line block ×7, first 2 shown]
.LBB0_5:
	s_or_b32 exec_lo, exec_lo, s0
	v_lshlrev_b32_e32 v152, 4, v185
	s_waitcnt lgkmcnt(0)
	s_barrier
	buffer_gl0_inv
	v_add_co_u32 v174, s0, s12, v152
	v_add_co_ci_u32_e64 v175, null, s13, 0, s0
	v_add_co_u32 v152, s0, 0x7000, v174
	v_add_co_ci_u32_e64 v153, s0, 0, v175, s0
	v_add_co_u32 v156, s0, 0x8800, v174
	v_add_co_ci_u32_e64 v157, s0, 0, v175, s0
	;; [unrolled: 2-line block ×7, first 2 shown]
	v_add_co_u32 v180, s0, 0xd000, v174
	s_clause 0x4
	global_load_dwordx4 v[152:155], v[152:153], off
	global_load_dwordx4 v[156:159], v[156:157], off offset:1024
	global_load_dwordx4 v[160:163], v[160:161], off
	global_load_dwordx4 v[164:167], v[164:165], off offset:1024
	global_load_dwordx4 v[168:171], v[168:169], off offset:1536
	v_add_co_ci_u32_e64 v181, s0, 0, v175, s0
	s_clause 0x2
	global_load_dwordx4 v[172:175], v[172:173], off offset:512
	global_load_dwordx4 v[176:179], v[176:177], off offset:1536
	;; [unrolled: 1-line block ×3, first 2 shown]
	ds_read_b128 v[195:198], v186
	ds_read_b128 v[199:202], v186 offset:7168
	ds_read_b128 v[203:206], v186 offset:14336
	;; [unrolled: 1-line block ×7, first 2 shown]
	s_waitcnt vmcnt(7) lgkmcnt(7)
	v_mul_f64 v[227:228], v[197:198], v[154:155]
	v_mul_f64 v[154:155], v[195:196], v[154:155]
	s_waitcnt vmcnt(6) lgkmcnt(6)
	v_mul_f64 v[229:230], v[201:202], v[158:159]
	v_mul_f64 v[158:159], v[199:200], v[158:159]
	;; [unrolled: 3-line block ×8, first 2 shown]
	v_fma_f64 v[195:196], v[195:196], v[152:153], -v[227:228]
	v_fma_f64 v[197:198], v[197:198], v[152:153], v[154:155]
	v_fma_f64 v[152:153], v[199:200], v[156:157], -v[229:230]
	v_fma_f64 v[154:155], v[201:202], v[156:157], v[158:159]
	;; [unrolled: 2-line block ×8, first 2 shown]
	ds_write_b128 v186, v[195:198]
	ds_write_b128 v186, v[152:155] offset:7168
	ds_write_b128 v186, v[156:159] offset:14336
	;; [unrolled: 1-line block ×7, first 2 shown]
	s_waitcnt lgkmcnt(0)
	s_barrier
	buffer_gl0_inv
	ds_read_b128 v[152:155], v186 offset:14336
	ds_read_b128 v[156:159], v186
	ds_read_b128 v[160:163], v186 offset:7168
	ds_read_b128 v[164:167], v186 offset:21504
	;; [unrolled: 1-line block ×6, first 2 shown]
	s_waitcnt lgkmcnt(0)
	s_barrier
	buffer_gl0_inv
	v_add_f64 v[195:196], v[156:157], -v[152:153]
	v_add_f64 v[197:198], v[158:159], -v[154:155]
	;; [unrolled: 1-line block ×8, first 2 shown]
	v_fma_f64 v[182:183], v[156:157], 2.0, -v[195:196]
	v_fma_f64 v[199:200], v[158:159], 2.0, -v[197:198]
	;; [unrolled: 1-line block ×8, first 2 shown]
	v_add_f64 v[152:153], v[195:196], v[152:153]
	v_add_f64 v[154:155], v[197:198], -v[154:155]
	v_add_f64 v[156:157], v[172:173], v[164:165]
	v_add_f64 v[160:161], v[182:183], -v[158:159]
	v_add_f64 v[162:163], v[199:200], -v[162:163]
	;; [unrolled: 1-line block ×5, first 2 shown]
	v_fma_f64 v[168:169], v[195:196], 2.0, -v[152:153]
	v_fma_f64 v[170:171], v[197:198], 2.0, -v[154:155]
	;; [unrolled: 1-line block ×8, first 2 shown]
	ds_write_b128 v188, v[152:155] offset:48
	ds_write_b128 v188, v[168:171] offset:16
	;; [unrolled: 1-line block ×3, first 2 shown]
	ds_write_b128 v188, v[176:179]
	ds_write_b128 v187, v[180:183]
	ds_write_b128 v187, v[172:175] offset:16
	ds_write_b128 v187, v[164:167] offset:32
	;; [unrolled: 1-line block ×3, first 2 shown]
	s_waitcnt lgkmcnt(0)
	s_barrier
	buffer_gl0_inv
	ds_read_b128 v[152:155], v186 offset:7168
	ds_read_b128 v[156:159], v186 offset:14336
	;; [unrolled: 1-line block ×6, first 2 shown]
	ds_read_b128 v[176:179], v186
	ds_read_b128 v[180:183], v186 offset:3584
	s_waitcnt lgkmcnt(0)
	s_barrier
	buffer_gl0_inv
	v_mul_f64 v[187:188], v[42:43], v[154:155]
	v_mul_f64 v[195:196], v[42:43], v[152:153]
	;; [unrolled: 1-line block ×12, first 2 shown]
	v_fma_f64 v[152:153], v[40:41], v[152:153], v[187:188]
	v_fma_f64 v[154:155], v[40:41], v[154:155], -v[195:196]
	v_fma_f64 v[156:157], v[36:37], v[156:157], v[197:198]
	v_fma_f64 v[158:159], v[36:37], v[158:159], -v[199:200]
	;; [unrolled: 2-line block ×6, first 2 shown]
	v_add_f64 v[156:157], v[176:177], -v[156:157]
	v_add_f64 v[158:159], v[178:179], -v[158:159]
	;; [unrolled: 1-line block ×8, first 2 shown]
	v_fma_f64 v[166:167], v[176:177], 2.0, -v[156:157]
	v_fma_f64 v[168:169], v[178:179], 2.0, -v[158:159]
	;; [unrolled: 1-line block ×4, first 2 shown]
	v_add_f64 v[32:33], v[156:157], v[160:161]
	v_add_f64 v[34:35], v[158:159], -v[34:35]
	v_fma_f64 v[170:171], v[180:181], 2.0, -v[162:163]
	v_fma_f64 v[174:175], v[182:183], 2.0, -v[172:173]
	;; [unrolled: 1-line block ×4, first 2 shown]
	v_add_f64 v[36:37], v[162:163], v[36:37]
	v_add_f64 v[38:39], v[172:173], -v[38:39]
	v_add_f64 v[40:41], v[166:167], -v[42:43]
	;; [unrolled: 1-line block ×3, first 2 shown]
	v_fma_f64 v[156:157], v[156:157], 2.0, -v[32:33]
	v_fma_f64 v[158:159], v[158:159], 2.0, -v[34:35]
	v_add_f64 v[152:153], v[170:171], -v[154:155]
	v_add_f64 v[154:155], v[174:175], -v[164:165]
	v_fma_f64 v[160:161], v[162:163], 2.0, -v[36:37]
	v_fma_f64 v[162:163], v[172:173], 2.0, -v[38:39]
	;; [unrolled: 1-line block ×6, first 2 shown]
	ds_write_b128 v190, v[32:35] offset:192
	ds_write_b128 v190, v[156:159] offset:64
	;; [unrolled: 1-line block ×3, first 2 shown]
	ds_write_b128 v190, v[164:167]
	ds_write_b128 v189, v[168:171]
	ds_write_b128 v189, v[160:163] offset:64
	ds_write_b128 v189, v[152:155] offset:128
	ds_write_b128 v189, v[36:39] offset:192
	s_waitcnt lgkmcnt(0)
	s_barrier
	buffer_gl0_inv
	ds_read_b128 v[32:35], v186 offset:7168
	ds_read_b128 v[36:39], v186 offset:14336
	;; [unrolled: 1-line block ×6, first 2 shown]
	ds_read_b128 v[164:167], v186
	ds_read_b128 v[168:171], v186 offset:3584
	s_waitcnt lgkmcnt(0)
	s_barrier
	buffer_gl0_inv
	v_mul_f64 v[172:173], v[58:59], v[34:35]
	v_mul_f64 v[174:175], v[58:59], v[32:33]
	;; [unrolled: 1-line block ×12, first 2 shown]
	v_fma_f64 v[32:33], v[56:57], v[32:33], v[172:173]
	v_fma_f64 v[34:35], v[56:57], v[34:35], -v[174:175]
	v_fma_f64 v[36:37], v[52:53], v[36:37], v[176:177]
	v_fma_f64 v[38:39], v[52:53], v[38:39], -v[178:179]
	;; [unrolled: 2-line block ×6, first 2 shown]
	v_add_f64 v[154:155], v[164:165], -v[36:37]
	v_add_f64 v[156:157], v[166:167], -v[38:39]
	v_add_f64 v[36:37], v[32:33], -v[40:41]
	v_add_f64 v[38:39], v[34:35], -v[42:43]
	v_add_f64 v[58:59], v[168:169], -v[58:59]
	v_add_f64 v[160:161], v[170:171], -v[52:53]
	v_add_f64 v[52:53], v[152:153], -v[54:55]
	v_add_f64 v[40:41], v[56:57], -v[48:49]
	v_fma_f64 v[158:159], v[164:165], 2.0, -v[154:155]
	v_fma_f64 v[162:163], v[166:167], 2.0, -v[156:157]
	v_fma_f64 v[42:43], v[32:33], 2.0, -v[36:37]
	v_fma_f64 v[48:49], v[34:35], 2.0, -v[38:39]
	v_add_f64 v[32:33], v[154:155], v[38:39]
	v_add_f64 v[34:35], v[156:157], -v[36:37]
	v_fma_f64 v[164:165], v[168:169], 2.0, -v[58:59]
	v_fma_f64 v[166:167], v[170:171], 2.0, -v[160:161]
	;; [unrolled: 1-line block ×4, first 2 shown]
	v_add_f64 v[36:37], v[58:59], v[40:41]
	v_add_f64 v[38:39], v[160:161], -v[52:53]
	v_add_f64 v[40:41], v[158:159], -v[42:43]
	;; [unrolled: 1-line block ×3, first 2 shown]
	v_fma_f64 v[52:53], v[154:155], 2.0, -v[32:33]
	v_add_f64 v[48:49], v[164:165], -v[50:51]
	v_add_f64 v[50:51], v[166:167], -v[54:55]
	v_fma_f64 v[54:55], v[156:157], 2.0, -v[34:35]
	v_fma_f64 v[56:57], v[58:59], 2.0, -v[36:37]
	;; [unrolled: 1-line block ×7, first 2 shown]
	ds_write_b128 v194, v[32:35] offset:768
	ds_write_b128 v194, v[52:55] offset:256
	;; [unrolled: 1-line block ×3, first 2 shown]
	ds_write_b128 v194, v[152:155]
	ds_write_b128 v193, v[156:159]
	ds_write_b128 v193, v[56:59] offset:256
	ds_write_b128 v193, v[48:51] offset:512
	;; [unrolled: 1-line block ×3, first 2 shown]
	s_waitcnt lgkmcnt(0)
	s_barrier
	buffer_gl0_inv
	ds_read_b128 v[32:35], v186 offset:7168
	ds_read_b128 v[36:39], v186 offset:14336
	;; [unrolled: 1-line block ×6, first 2 shown]
	ds_read_b128 v[152:155], v186
	ds_read_b128 v[156:159], v186 offset:3584
	s_waitcnt lgkmcnt(0)
	s_barrier
	buffer_gl0_inv
	v_mul_f64 v[160:161], v[90:91], v[34:35]
	v_mul_f64 v[90:91], v[90:91], v[32:33]
	v_mul_f64 v[162:163], v[86:87], v[38:39]
	v_mul_f64 v[86:87], v[86:87], v[36:37]
	v_mul_f64 v[164:165], v[82:83], v[42:43]
	v_mul_f64 v[82:83], v[82:83], v[40:41]
	v_mul_f64 v[166:167], v[102:103], v[50:51]
	v_mul_f64 v[102:103], v[102:103], v[48:49]
	v_mul_f64 v[168:169], v[98:99], v[54:55]
	v_mul_f64 v[98:99], v[98:99], v[52:53]
	v_mul_f64 v[170:171], v[94:95], v[58:59]
	v_mul_f64 v[94:95], v[94:95], v[56:57]
	v_fma_f64 v[32:33], v[88:89], v[32:33], v[160:161]
	v_fma_f64 v[34:35], v[88:89], v[34:35], -v[90:91]
	v_fma_f64 v[36:37], v[84:85], v[36:37], v[162:163]
	v_fma_f64 v[38:39], v[84:85], v[38:39], -v[86:87]
	;; [unrolled: 2-line block ×6, first 2 shown]
	v_add_f64 v[80:81], v[152:153], -v[36:37]
	v_add_f64 v[82:83], v[154:155], -v[38:39]
	;; [unrolled: 1-line block ×8, first 2 shown]
	v_fma_f64 v[58:59], v[152:153], 2.0, -v[80:81]
	v_fma_f64 v[86:87], v[154:155], 2.0, -v[82:83]
	v_fma_f64 v[42:43], v[32:33], 2.0, -v[38:39]
	v_fma_f64 v[34:35], v[34:35], 2.0, -v[36:37]
	v_add_f64 v[36:37], v[80:81], v[36:37]
	v_add_f64 v[38:39], v[82:83], -v[38:39]
	v_fma_f64 v[90:91], v[156:157], 2.0, -v[84:85]
	v_fma_f64 v[92:93], v[158:159], 2.0, -v[88:89]
	;; [unrolled: 1-line block ×4, first 2 shown]
	v_add_f64 v[32:33], v[84:85], v[40:41]
	v_add_f64 v[40:41], v[58:59], -v[42:43]
	v_add_f64 v[42:43], v[86:87], -v[34:35]
	v_add_f64 v[34:35], v[88:89], -v[52:53]
	v_fma_f64 v[52:53], v[80:81], 2.0, -v[36:37]
	v_fma_f64 v[54:55], v[82:83], 2.0, -v[38:39]
	v_add_f64 v[48:49], v[90:91], -v[48:49]
	v_add_f64 v[50:51], v[92:93], -v[50:51]
	v_fma_f64 v[56:57], v[84:85], 2.0, -v[32:33]
	v_fma_f64 v[80:81], v[58:59], 2.0, -v[40:41]
	;; [unrolled: 1-line block ×6, first 2 shown]
	ds_write_b128 v192, v[36:39] offset:3072
	ds_write_b128 v192, v[52:55] offset:1024
	;; [unrolled: 1-line block ×3, first 2 shown]
	ds_write_b128 v192, v[80:83]
	ds_write_b128 v191, v[84:87]
	ds_write_b128 v191, v[56:59] offset:1024
	ds_write_b128 v191, v[48:51] offset:2048
	;; [unrolled: 1-line block ×3, first 2 shown]
	s_waitcnt lgkmcnt(0)
	s_barrier
	buffer_gl0_inv
	ds_read_b128 v[36:39], v186
	ds_read_b128 v[80:83], v186 offset:4096
	ds_read_b128 v[56:59], v186 offset:8192
	;; [unrolled: 1-line block ×6, first 2 shown]
	s_and_saveexec_b32 s0, vcc_lo
	s_cbranch_execz .LBB0_7
; %bb.6:
	ds_read_b128 v[32:35], v186 offset:3584
	ds_read_b128 v[128:131], v186 offset:7680
	;; [unrolled: 1-line block ×7, first 2 shown]
.LBB0_7:
	s_or_b32 exec_lo, exec_lo, s0
	s_waitcnt lgkmcnt(5)
	v_mul_f64 v[88:89], v[118:119], v[82:83]
	v_mul_f64 v[90:91], v[118:119], v[80:81]
	s_waitcnt lgkmcnt(4)
	v_mul_f64 v[92:93], v[122:123], v[58:59]
	v_mul_f64 v[94:95], v[122:123], v[56:57]
	;; [unrolled: 3-line block ×3, first 2 shown]
	v_mul_f64 v[100:101], v[114:115], v[54:55]
	v_mul_f64 v[102:103], v[114:115], v[52:53]
	;; [unrolled: 1-line block ×6, first 2 shown]
	s_mov_b32 s6, 0x37e14327
	s_mov_b32 s14, 0xe976ee23
	;; [unrolled: 1-line block ×10, first 2 shown]
	v_fma_f64 v[80:81], v[116:117], v[80:81], v[88:89]
	v_fma_f64 v[82:83], v[116:117], v[82:83], -v[90:91]
	v_fma_f64 v[56:57], v[120:121], v[56:57], v[92:93]
	v_fma_f64 v[58:59], v[120:121], v[58:59], -v[94:95]
	;; [unrolled: 2-line block ×6, first 2 shown]
	s_mov_b32 s13, 0xbff2aaaa
	s_mov_b32 s16, 0x5476071b
	;; [unrolled: 1-line block ×10, first 2 shown]
	v_add_f64 v[88:89], v[80:81], v[84:85]
	v_add_f64 v[90:91], v[82:83], v[86:87]
	;; [unrolled: 1-line block ×4, first 2 shown]
	v_add_f64 v[52:53], v[56:57], -v[52:53]
	v_add_f64 v[54:55], v[58:59], -v[54:55]
	v_add_f64 v[56:57], v[48:49], v[40:41]
	v_add_f64 v[58:59], v[50:51], v[42:43]
	v_add_f64 v[40:41], v[40:41], -v[48:49]
	v_add_f64 v[42:43], v[42:43], -v[50:51]
	;; [unrolled: 1-line block ×4, first 2 shown]
	v_add_f64 v[80:81], v[92:93], v[88:89]
	v_add_f64 v[82:83], v[94:95], v[90:91]
	v_add_f64 v[84:85], v[88:89], -v[56:57]
	v_add_f64 v[86:87], v[90:91], -v[58:59]
	;; [unrolled: 1-line block ×6, first 2 shown]
	v_add_f64 v[52:53], v[40:41], v[52:53]
	v_add_f64 v[54:55], v[42:43], v[54:55]
	v_add_f64 v[40:41], v[48:49], -v[40:41]
	v_add_f64 v[42:43], v[50:51], -v[42:43]
	;; [unrolled: 1-line block ×4, first 2 shown]
	v_add_f64 v[80:81], v[56:57], v[80:81]
	v_add_f64 v[82:83], v[58:59], v[82:83]
	v_add_f64 v[56:57], v[56:57], -v[92:93]
	v_add_f64 v[58:59], v[58:59], -v[94:95]
	v_mul_f64 v[84:85], v[84:85], s[6:7]
	v_mul_f64 v[86:87], v[86:87], s[6:7]
	v_mul_f64 v[96:97], v[96:97], s[14:15]
	v_mul_f64 v[98:99], v[98:99], s[14:15]
	v_mul_f64 v[104:105], v[100:101], s[0:1]
	v_mul_f64 v[106:107], v[102:103], s[0:1]
	v_add_f64 v[48:49], v[52:53], v[48:49]
	v_add_f64 v[50:51], v[54:55], v[50:51]
	;; [unrolled: 1-line block ×4, first 2 shown]
	v_mul_f64 v[92:93], v[56:57], s[4:5]
	v_mul_f64 v[94:95], v[58:59], s[4:5]
	v_fma_f64 v[52:53], v[56:57], s[4:5], v[84:85]
	v_fma_f64 v[54:55], v[58:59], s[4:5], v[86:87]
	;; [unrolled: 1-line block ×4, first 2 shown]
	v_fma_f64 v[96:97], v[100:101], s[0:1], -v[96:97]
	v_fma_f64 v[98:99], v[102:103], s[0:1], -v[98:99]
	;; [unrolled: 1-line block ×6, first 2 shown]
	v_fma_f64 v[80:81], v[80:81], s[12:13], v[36:37]
	v_fma_f64 v[82:83], v[82:83], s[12:13], v[38:39]
	v_fma_f64 v[88:89], v[88:89], s[16:17], -v[92:93]
	v_fma_f64 v[90:91], v[90:91], s[16:17], -v[94:95]
	v_fma_f64 v[92:93], v[48:49], s[24:25], v[56:57]
	v_fma_f64 v[94:95], v[50:51], s[24:25], v[58:59]
	;; [unrolled: 1-line block ×6, first 2 shown]
	v_add_f64 v[100:101], v[52:53], v[80:81]
	v_add_f64 v[102:103], v[54:55], v[82:83]
	;; [unrolled: 1-line block ×7, first 2 shown]
	v_add_f64 v[42:43], v[102:103], -v[92:93]
	v_add_f64 v[48:49], v[98:99], v[84:85]
	v_add_f64 v[50:51], v[86:87], -v[96:97]
	v_add_f64 v[52:53], v[80:81], -v[56:57]
	v_add_f64 v[54:55], v[58:59], v[82:83]
	v_add_f64 v[56:57], v[56:57], v[80:81]
	v_add_f64 v[58:59], v[82:83], -v[58:59]
	v_add_f64 v[80:81], v[84:85], -v[98:99]
	v_add_f64 v[82:83], v[96:97], v[86:87]
	v_add_f64 v[84:85], v[100:101], -v[94:95]
	v_add_f64 v[86:87], v[92:93], v[102:103]
	ds_write_b128 v186, v[36:39]
	ds_write_b128 v186, v[40:43] offset:4096
	ds_write_b128 v186, v[48:51] offset:8192
	ds_write_b128 v186, v[52:55] offset:12288
	ds_write_b128 v186, v[56:59] offset:16384
	ds_write_b128 v186, v[80:83] offset:20480
	ds_write_b128 v186, v[84:87] offset:24576
	s_and_saveexec_b32 s26, vcc_lo
	s_cbranch_execz .LBB0_9
; %bb.8:
	v_mul_f64 v[36:37], v[78:79], v[148:149]
	v_mul_f64 v[38:39], v[46:47], v[128:129]
	v_mul_f64 v[40:41], v[74:75], v[144:145]
	v_mul_f64 v[42:43], v[66:67], v[132:133]
	v_mul_f64 v[46:47], v[46:47], v[130:131]
	v_mul_f64 v[48:49], v[78:79], v[150:151]
	v_mul_f64 v[50:51], v[66:67], v[134:135]
	v_mul_f64 v[52:53], v[74:75], v[146:147]
	v_mul_f64 v[54:55], v[70:71], v[142:143]
	v_mul_f64 v[56:57], v[62:63], v[138:139]
	v_mul_f64 v[58:59], v[62:63], v[136:137]
	v_mul_f64 v[62:63], v[70:71], v[140:141]
	v_fma_f64 v[36:37], v[76:77], v[150:151], -v[36:37]
	v_fma_f64 v[38:39], v[44:45], v[130:131], -v[38:39]
	;; [unrolled: 1-line block ×4, first 2 shown]
	v_fma_f64 v[44:45], v[44:45], v[128:129], v[46:47]
	v_fma_f64 v[46:47], v[76:77], v[148:149], v[48:49]
	;; [unrolled: 1-line block ×6, first 2 shown]
	v_fma_f64 v[56:57], v[60:61], v[138:139], -v[58:59]
	v_fma_f64 v[58:59], v[68:69], v[142:143], -v[62:63]
	v_add_f64 v[60:61], v[38:39], v[36:37]
	v_add_f64 v[36:37], v[38:39], -v[36:37]
	v_add_f64 v[62:63], v[42:43], v[40:41]
	v_add_f64 v[40:41], v[42:43], -v[40:41]
	;; [unrolled: 2-line block ×4, first 2 shown]
	v_add_f64 v[68:69], v[52:53], -v[54:55]
	v_add_f64 v[52:53], v[54:55], v[52:53]
	v_add_f64 v[50:51], v[56:57], v[58:59]
	v_add_f64 v[54:55], v[58:59], -v[56:57]
	v_add_f64 v[46:47], v[62:63], v[60:61]
	v_add_f64 v[74:75], v[40:41], -v[36:37]
	;; [unrolled: 2-line block ×3, first 2 shown]
	v_add_f64 v[42:43], v[68:69], -v[48:49]
	v_add_f64 v[58:59], v[64:65], -v[52:53]
	;; [unrolled: 1-line block ×5, first 2 shown]
	v_add_f64 v[48:49], v[68:69], v[48:49]
	v_add_f64 v[40:41], v[54:55], v[40:41]
	v_add_f64 v[54:55], v[36:37], -v[54:55]
	v_add_f64 v[60:61], v[62:63], -v[60:61]
	v_add_f64 v[64:65], v[66:67], -v[64:65]
	v_add_f64 v[46:47], v[50:51], v[46:47]
	v_add_f64 v[50:51], v[50:51], -v[62:63]
	v_mul_f64 v[78:79], v[74:75], s[0:1]
	v_add_f64 v[38:39], v[52:53], v[38:39]
	v_add_f64 v[52:53], v[52:53], -v[66:67]
	v_mul_f64 v[42:43], v[42:43], s[14:15]
	v_mul_f64 v[58:59], v[58:59], s[6:7]
	;; [unrolled: 1-line block ×5, first 2 shown]
	v_add_f64 v[44:45], v[48:49], v[44:45]
	v_add_f64 v[36:37], v[40:41], v[36:37]
	;; [unrolled: 1-line block ×3, first 2 shown]
	v_mul_f64 v[62:63], v[50:51], s[4:5]
	v_add_f64 v[32:33], v[32:33], v[38:39]
	v_mul_f64 v[66:67], v[52:53], s[4:5]
	v_fma_f64 v[40:41], v[76:77], s[20:21], v[42:43]
	v_fma_f64 v[42:43], v[70:71], s[0:1], -v[42:43]
	v_fma_f64 v[48:49], v[50:51], s[4:5], v[56:57]
	v_fma_f64 v[50:51], v[52:53], s[4:5], v[58:59]
	v_fma_f64 v[52:53], v[76:77], s[22:23], -v[68:69]
	v_fma_f64 v[56:57], v[60:61], s[18:19], -v[56:57]
	;; [unrolled: 1-line block ×4, first 2 shown]
	v_fma_f64 v[46:47], v[46:47], s[12:13], v[34:35]
	v_fma_f64 v[60:61], v[60:61], s[16:17], -v[62:63]
	v_fma_f64 v[62:63], v[54:55], s[20:21], v[72:73]
	v_fma_f64 v[54:55], v[54:55], s[22:23], -v[78:79]
	;; [unrolled: 2-line block ×3, first 2 shown]
	v_fma_f64 v[40:41], v[44:45], s[24:25], v[40:41]
	v_fma_f64 v[52:53], v[44:45], s[24:25], v[52:53]
	;; [unrolled: 1-line block ×3, first 2 shown]
	v_add_f64 v[48:49], v[48:49], v[46:47]
	v_add_f64 v[56:57], v[56:57], v[46:47]
	v_fma_f64 v[62:63], v[36:37], s[24:25], v[62:63]
	v_fma_f64 v[66:67], v[36:37], s[24:25], v[54:55]
	;; [unrolled: 1-line block ×3, first 2 shown]
	v_add_f64 v[68:69], v[50:51], v[38:39]
	v_add_f64 v[70:71], v[58:59], v[38:39]
	v_add_f64 v[60:61], v[60:61], v[46:47]
	v_add_f64 v[64:65], v[64:65], v[38:39]
	v_add_f64 v[58:59], v[48:49], -v[40:41]
	v_add_f64 v[42:43], v[52:53], v[56:57]
	v_add_f64 v[54:55], v[56:57], -v[52:53]
	v_add_f64 v[38:39], v[40:41], v[48:49]
	v_add_f64 v[56:57], v[62:63], v[68:69]
	v_add_f64 v[52:53], v[66:67], v[70:71]
	v_add_f64 v[50:51], v[44:45], v[60:61]
	v_add_f64 v[48:49], v[64:65], -v[36:37]
	v_add_f64 v[46:47], v[60:61], -v[44:45]
	v_add_f64 v[44:45], v[36:37], v[64:65]
	v_add_f64 v[40:41], v[70:71], -v[66:67]
	v_add_f64 v[36:37], v[68:69], -v[62:63]
	ds_write_b128 v186, v[32:35] offset:3584
	ds_write_b128 v186, v[56:59] offset:7680
	;; [unrolled: 1-line block ×7, first 2 shown]
.LBB0_9:
	s_or_b32 exec_lo, exec_lo, s26
	s_waitcnt lgkmcnt(0)
	s_barrier
	buffer_gl0_inv
	ds_read_b128 v[32:35], v186
	ds_read_b128 v[36:39], v186 offset:7168
	ds_read_b128 v[40:43], v186 offset:14336
	;; [unrolled: 1-line block ×3, first 2 shown]
	v_mad_u64_u32 v[64:65], null, s10, v184, 0
	v_mad_u64_u32 v[66:67], null, s8, v185, 0
	ds_read_b128 v[48:51], v186 offset:3584
	ds_read_b128 v[52:55], v186 offset:10752
	;; [unrolled: 1-line block ×4, first 2 shown]
	s_mov_b32 s0, 0x92492492
	s_mov_b32 s1, 0x3f424924
	s_mul_i32 s4, s9, 0x1c00
	v_mad_u64_u32 v[74:75], null, s11, v184, v[65:66]
	s_mul_hi_u32 s5, s8, 0x1c00
	s_add_i32 s5, s5, s4
	s_waitcnt lgkmcnt(7)
	v_mul_f64 v[68:69], v[2:3], v[34:35]
	s_waitcnt lgkmcnt(6)
	v_mul_f64 v[70:71], v[30:31], v[38:39]
	v_mul_f64 v[30:31], v[30:31], v[36:37]
	s_waitcnt lgkmcnt(5)
	v_mul_f64 v[72:73], v[26:27], v[42:43]
	v_mul_f64 v[26:27], v[26:27], v[40:41]
	;; [unrolled: 1-line block ×3, first 2 shown]
	v_mov_b32_e32 v65, v74
	s_waitcnt lgkmcnt(3)
	v_mul_f64 v[78:79], v[10:11], v[50:51]
	v_mul_f64 v[10:11], v[10:11], v[48:49]
	s_waitcnt lgkmcnt(2)
	v_mul_f64 v[80:81], v[6:7], v[54:55]
	v_mul_f64 v[82:83], v[6:7], v[52:53]
	v_mad_u64_u32 v[75:76], null, s9, v185, v[67:68]
	v_mul_f64 v[76:77], v[14:15], v[46:47]
	v_mul_f64 v[14:15], v[14:15], v[44:45]
	v_fma_f64 v[6:7], v[0:1], v[32:33], v[68:69]
	v_fma_f64 v[32:33], v[28:29], v[36:37], v[70:71]
	v_fma_f64 v[28:29], v[28:29], v[38:39], -v[30:31]
	v_fma_f64 v[26:27], v[24:25], v[42:43], -v[26:27]
	s_waitcnt lgkmcnt(1)
	v_mul_f64 v[30:31], v[18:19], v[58:59]
	v_mul_f64 v[18:19], v[18:19], v[56:57]
	v_fma_f64 v[2:3], v[0:1], v[34:35], -v[2:3]
	s_waitcnt lgkmcnt(0)
	v_mul_f64 v[34:35], v[22:23], v[62:63]
	v_fma_f64 v[38:39], v[24:25], v[40:41], v[72:73]
	v_mul_f64 v[40:41], v[22:23], v[60:61]
	v_mov_b32_e32 v67, v75
	v_lshlrev_b64 v[0:1], 4, v[64:65]
	v_lshlrev_b64 v[36:37], 4, v[66:67]
	v_add_co_u32 v0, vcc_lo, s2, v0
	v_add_co_ci_u32_e32 v1, vcc_lo, s3, v1, vcc_lo
	v_fma_f64 v[42:43], v[12:13], v[44:45], v[76:77]
	v_add_co_u32 v36, vcc_lo, v0, v36
	v_add_co_ci_u32_e32 v37, vcc_lo, v1, v37, vcc_lo
	v_fma_f64 v[12:13], v[12:13], v[46:47], -v[14:15]
	v_mul_f64 v[24:25], v[28:29], s[0:1]
	s_mul_i32 s2, s8, 0x1c00
	v_fma_f64 v[14:15], v[8:9], v[48:49], v[78:79]
	v_fma_f64 v[28:29], v[8:9], v[50:51], -v[10:11]
	v_mul_f64 v[8:9], v[26:27], s[0:1]
	v_fma_f64 v[26:27], v[4:5], v[52:53], v[80:81]
	v_fma_f64 v[4:5], v[4:5], v[54:55], -v[82:83]
	v_mul_f64 v[22:23], v[32:33], s[0:1]
	v_add_co_u32 v44, vcc_lo, v36, s2
	v_fma_f64 v[30:31], v[16:17], v[56:57], v[30:31]
	v_fma_f64 v[32:33], v[16:17], v[58:59], -v[18:19]
	v_mul_f64 v[0:1], v[6:7], s[0:1]
	v_mul_f64 v[6:7], v[38:39], s[0:1]
	v_fma_f64 v[34:35], v[20:21], v[60:61], v[34:35]
	v_fma_f64 v[38:39], v[20:21], v[62:63], -v[40:41]
	v_add_co_ci_u32_e32 v45, vcc_lo, s5, v37, vcc_lo
	v_add_co_u32 v40, vcc_lo, v44, s2
	v_mul_f64 v[2:3], v[2:3], s[0:1]
	v_add_co_ci_u32_e32 v41, vcc_lo, s5, v45, vcc_lo
	v_mul_f64 v[10:11], v[42:43], s[0:1]
	v_add_co_u32 v42, vcc_lo, v40, s2
	v_add_co_ci_u32_e32 v43, vcc_lo, s5, v41, vcc_lo
	v_mul_f64 v[12:13], v[12:13], s[0:1]
	v_mul_f64 v[14:15], v[14:15], s[0:1]
	;; [unrolled: 1-line block ×3, first 2 shown]
	v_mad_u64_u32 v[46:47], null, 0xffffba00, s8, v[42:43]
	s_mul_i32 s3, s9, 0xffffba00
	v_mul_f64 v[18:19], v[26:27], s[0:1]
	v_mul_f64 v[20:21], v[4:5], s[0:1]
	;; [unrolled: 1-line block ×4, first 2 shown]
	s_sub_i32 s3, s3, s8
	v_mul_f64 v[30:31], v[34:35], s[0:1]
	v_mul_f64 v[32:33], v[38:39], s[0:1]
	v_add_nc_u32_e32 v47, s3, v47
	global_store_dwordx4 v[36:37], v[0:3], off
	v_add_co_u32 v0, vcc_lo, v46, s2
	global_store_dwordx4 v[44:45], v[22:25], off
	v_add_co_ci_u32_e32 v1, vcc_lo, s5, v47, vcc_lo
	v_add_co_u32 v2, vcc_lo, v0, s2
	global_store_dwordx4 v[40:41], v[6:9], off
	v_add_co_ci_u32_e32 v3, vcc_lo, s5, v1, vcc_lo
	v_add_co_u32 v4, vcc_lo, v2, s2
	v_add_co_ci_u32_e32 v5, vcc_lo, s5, v3, vcc_lo
	global_store_dwordx4 v[42:43], v[10:13], off
	global_store_dwordx4 v[46:47], v[14:17], off
	;; [unrolled: 1-line block ×5, first 2 shown]
.LBB0_10:
	s_endpgm
	.section	.rodata,"a",@progbits
	.p2align	6, 0x0
	.amdhsa_kernel bluestein_single_back_len1792_dim1_dp_op_CI_CI
		.amdhsa_group_segment_fixed_size 28672
		.amdhsa_private_segment_fixed_size 0
		.amdhsa_kernarg_size 104
		.amdhsa_user_sgpr_count 6
		.amdhsa_user_sgpr_private_segment_buffer 1
		.amdhsa_user_sgpr_dispatch_ptr 0
		.amdhsa_user_sgpr_queue_ptr 0
		.amdhsa_user_sgpr_kernarg_segment_ptr 1
		.amdhsa_user_sgpr_dispatch_id 0
		.amdhsa_user_sgpr_flat_scratch_init 0
		.amdhsa_user_sgpr_private_segment_size 0
		.amdhsa_wavefront_size32 1
		.amdhsa_uses_dynamic_stack 0
		.amdhsa_system_sgpr_private_segment_wavefront_offset 0
		.amdhsa_system_sgpr_workgroup_id_x 1
		.amdhsa_system_sgpr_workgroup_id_y 0
		.amdhsa_system_sgpr_workgroup_id_z 0
		.amdhsa_system_sgpr_workgroup_info 0
		.amdhsa_system_vgpr_workitem_id 0
		.amdhsa_next_free_vgpr 243
		.amdhsa_next_free_sgpr 28
		.amdhsa_reserve_vcc 1
		.amdhsa_reserve_flat_scratch 0
		.amdhsa_float_round_mode_32 0
		.amdhsa_float_round_mode_16_64 0
		.amdhsa_float_denorm_mode_32 3
		.amdhsa_float_denorm_mode_16_64 3
		.amdhsa_dx10_clamp 1
		.amdhsa_ieee_mode 1
		.amdhsa_fp16_overflow 0
		.amdhsa_workgroup_processor_mode 1
		.amdhsa_memory_ordered 1
		.amdhsa_forward_progress 0
		.amdhsa_shared_vgpr_count 0
		.amdhsa_exception_fp_ieee_invalid_op 0
		.amdhsa_exception_fp_denorm_src 0
		.amdhsa_exception_fp_ieee_div_zero 0
		.amdhsa_exception_fp_ieee_overflow 0
		.amdhsa_exception_fp_ieee_underflow 0
		.amdhsa_exception_fp_ieee_inexact 0
		.amdhsa_exception_int_div_zero 0
	.end_amdhsa_kernel
	.text
.Lfunc_end0:
	.size	bluestein_single_back_len1792_dim1_dp_op_CI_CI, .Lfunc_end0-bluestein_single_back_len1792_dim1_dp_op_CI_CI
                                        ; -- End function
	.section	.AMDGPU.csdata,"",@progbits
; Kernel info:
; codeLenInByte = 11644
; NumSgprs: 30
; NumVgprs: 243
; ScratchSize: 0
; MemoryBound: 0
; FloatMode: 240
; IeeeMode: 1
; LDSByteSize: 28672 bytes/workgroup (compile time only)
; SGPRBlocks: 3
; VGPRBlocks: 30
; NumSGPRsForWavesPerEU: 30
; NumVGPRsForWavesPerEU: 243
; Occupancy: 4
; WaveLimiterHint : 1
; COMPUTE_PGM_RSRC2:SCRATCH_EN: 0
; COMPUTE_PGM_RSRC2:USER_SGPR: 6
; COMPUTE_PGM_RSRC2:TRAP_HANDLER: 0
; COMPUTE_PGM_RSRC2:TGID_X_EN: 1
; COMPUTE_PGM_RSRC2:TGID_Y_EN: 0
; COMPUTE_PGM_RSRC2:TGID_Z_EN: 0
; COMPUTE_PGM_RSRC2:TIDIG_COMP_CNT: 0
	.text
	.p2alignl 6, 3214868480
	.fill 48, 4, 3214868480
	.type	__hip_cuid_ffa813e21a547409,@object ; @__hip_cuid_ffa813e21a547409
	.section	.bss,"aw",@nobits
	.globl	__hip_cuid_ffa813e21a547409
__hip_cuid_ffa813e21a547409:
	.byte	0                               ; 0x0
	.size	__hip_cuid_ffa813e21a547409, 1

	.ident	"AMD clang version 19.0.0git (https://github.com/RadeonOpenCompute/llvm-project roc-6.4.0 25133 c7fe45cf4b819c5991fe208aaa96edf142730f1d)"
	.section	".note.GNU-stack","",@progbits
	.addrsig
	.addrsig_sym __hip_cuid_ffa813e21a547409
	.amdgpu_metadata
---
amdhsa.kernels:
  - .args:
      - .actual_access:  read_only
        .address_space:  global
        .offset:         0
        .size:           8
        .value_kind:     global_buffer
      - .actual_access:  read_only
        .address_space:  global
        .offset:         8
        .size:           8
        .value_kind:     global_buffer
      - .actual_access:  read_only
        .address_space:  global
        .offset:         16
        .size:           8
        .value_kind:     global_buffer
      - .actual_access:  read_only
        .address_space:  global
        .offset:         24
        .size:           8
        .value_kind:     global_buffer
      - .actual_access:  read_only
        .address_space:  global
        .offset:         32
        .size:           8
        .value_kind:     global_buffer
      - .offset:         40
        .size:           8
        .value_kind:     by_value
      - .address_space:  global
        .offset:         48
        .size:           8
        .value_kind:     global_buffer
      - .address_space:  global
        .offset:         56
        .size:           8
        .value_kind:     global_buffer
      - .address_space:  global
        .offset:         64
        .size:           8
        .value_kind:     global_buffer
      - .address_space:  global
        .offset:         72
        .size:           8
        .value_kind:     global_buffer
      - .offset:         80
        .size:           4
        .value_kind:     by_value
      - .address_space:  global
        .offset:         88
        .size:           8
        .value_kind:     global_buffer
      - .address_space:  global
        .offset:         96
        .size:           8
        .value_kind:     global_buffer
    .group_segment_fixed_size: 28672
    .kernarg_segment_align: 8
    .kernarg_segment_size: 104
    .language:       OpenCL C
    .language_version:
      - 2
      - 0
    .max_flat_workgroup_size: 224
    .name:           bluestein_single_back_len1792_dim1_dp_op_CI_CI
    .private_segment_fixed_size: 0
    .sgpr_count:     30
    .sgpr_spill_count: 0
    .symbol:         bluestein_single_back_len1792_dim1_dp_op_CI_CI.kd
    .uniform_work_group_size: 1
    .uses_dynamic_stack: false
    .vgpr_count:     243
    .vgpr_spill_count: 0
    .wavefront_size: 32
    .workgroup_processor_mode: 1
amdhsa.target:   amdgcn-amd-amdhsa--gfx1030
amdhsa.version:
  - 1
  - 2
...

	.end_amdgpu_metadata
